;; amdgpu-corpus repo=ROCm/AMDMIGraphX kind=compiled arch=gfx906 opt=O3
	.text
	.amdgcn_target "amdgcn-amd-amdhsa--gfx906"
	.amdhsa_code_object_version 6
	.protected	prefix_scan_sum_f32     ; -- Begin function prefix_scan_sum_f32
	.globl	prefix_scan_sum_f32
	.p2align	8
	.type	prefix_scan_sum_f32,@function
prefix_scan_sum_f32:                    ; @prefix_scan_sum_f32
; %bb.0:
	s_cmp_gt_u32 s6, 7
	s_cbranch_scc1 .LBB0_15
; %bb.1:
	s_load_dwordx4 s[12:15], s[4:5], 0x0
	s_movk_i32 s0, 0x100
	s_lshl_b32 s16, s6, 8
	s_mov_b32 s17, 0
	v_cmp_gt_u32_e32 vcc, s0, v0
	v_mov_b32_e32 v2, 0
	v_lshlrev_b32_e32 v1, 2, v0
	s_and_saveexec_b64 s[0:1], vcc
	s_cbranch_execz .LBB0_3
; %bb.2:
	s_lshl_b64 s[2:3], s[16:17], 2
	s_waitcnt lgkmcnt(0)
	s_add_u32 s2, s12, s2
	s_addc_u32 s3, s13, s3
	global_load_dword v2, v1, s[2:3]
.LBB0_3:
	s_or_b64 exec, exec, s[0:1]
	v_mbcnt_lo_u32_b32 v3, -1, 0
	v_mbcnt_hi_u32_b32 v10, -1, v3
	v_add_u32_e32 v3, -1, v10
	v_and_b32_e32 v15, 64, v10
	v_cmp_lt_i32_e64 s[0:1], v3, v15
	v_cndmask_b32_e64 v3, v3, v10, s[0:1]
	v_lshlrev_b32_e32 v4, 2, v3
	s_waitcnt vmcnt(0)
	ds_bpermute_b32 v5, v4, v2
	v_and_b32_e32 v3, 63, v0
	v_cmp_eq_u32_e64 s[4:5], 0, v3
	v_subrev_u32_e32 v17, 32, v10
	v_cmp_lt_i32_e64 s[10:11], v17, v15
	s_waitcnt lgkmcnt(0)
	v_add_f32_e32 v7, v2, v5
	v_add_u32_e32 v5, -2, v10
	v_cmp_lt_i32_e64 s[0:1], v5, v15
	v_cndmask_b32_e64 v5, v5, v10, s[0:1]
	v_cndmask_b32_e64 v6, v7, v2, s[4:5]
	v_lshlrev_b32_e32 v5, 2, v5
	ds_bpermute_b32 v8, v5, v6
	v_cmp_lt_u32_e64 s[0:1], 1, v3
	s_waitcnt lgkmcnt(0)
	v_add_f32_e32 v11, v6, v8
	v_cndmask_b32_e64 v8, v6, v11, s[0:1]
	v_add_u32_e32 v6, -4, v10
	v_cmp_lt_i32_e64 s[2:3], v6, v15
	v_cndmask_b32_e64 v6, v6, v10, s[2:3]
	v_lshlrev_b32_e32 v6, 2, v6
	ds_bpermute_b32 v9, v6, v8
	v_cmp_lt_u32_e64 s[2:3], 3, v3
	s_waitcnt lgkmcnt(0)
	v_add_f32_e32 v12, v8, v9
	v_cndmask_b32_e64 v9, v8, v12, s[2:3]
	v_add_u32_e32 v8, -8, v10
	v_cmp_lt_i32_e64 s[6:7], v8, v15
	;; [unrolled: 9-line block ×3, first 2 shown]
	v_cndmask_b32_e64 v9, v9, v10, s[8:9]
	v_lshlrev_b32_e32 v9, 2, v9
	ds_bpermute_b32 v14, v9, v16
	v_cmp_lt_u32_e64 s[8:9], 15, v3
	v_cndmask_b32_e64 v10, v17, v10, s[10:11]
	v_lshlrev_b32_e32 v10, 2, v10
	v_cmp_ne_u32_e64 s[10:11], 0, v3
	s_waitcnt lgkmcnt(0)
	v_add_f32_e32 v14, v16, v14
	v_cndmask_b32_e64 v16, v16, v14, s[8:9]
	ds_bpermute_b32 v15, v10, v16
	s_and_saveexec_b64 s[18:19], s[10:11]
	s_cbranch_execz .LBB0_5
; %bb.4:
	s_waitcnt lgkmcnt(0)
	v_add_f32_e32 v2, v14, v15
	v_cmp_lt_u32_e64 s[12:13], 31, v3
	v_cndmask_b32_e64 v2, v14, v2, s[12:13]
	v_cndmask_b32_e64 v2, v13, v2, s[8:9]
	;; [unrolled: 1-line block ×5, first 2 shown]
.LBB0_5:
	s_or_b64 exec, exec, s[18:19]
	v_lshrrev_b32_e32 v7, 6, v0
	v_cmp_eq_u32_e64 s[12:13], 63, v3
	s_and_saveexec_b64 s[18:19], s[12:13]
	s_cbranch_execz .LBB0_7
; %bb.6:
	v_lshlrev_b32_e32 v11, 2, v7
	ds_write_b32 v11, v2
.LBB0_7:
	s_or_b64 exec, exec, s[18:19]
	v_cmp_gt_u32_e64 s[12:13], 4, v0
	s_waitcnt lgkmcnt(0)
	s_barrier
	s_and_saveexec_b64 s[18:19], s[12:13]
	s_cbranch_execz .LBB0_11
; %bb.8:
	ds_read_b32 v11, v1
	s_waitcnt lgkmcnt(0)
	ds_bpermute_b32 v4, v4, v11
	s_waitcnt lgkmcnt(0)
	v_add_f32_e32 v4, v11, v4
	v_cndmask_b32_e64 v12, v4, v11, s[4:5]
	ds_bpermute_b32 v5, v5, v12
	s_waitcnt lgkmcnt(0)
	v_add_f32_e32 v5, v12, v5
	v_cndmask_b32_e64 v12, v12, v5, s[0:1]
	;; [unrolled: 4-line block ×5, first 2 shown]
	ds_bpermute_b32 v10, v10, v12
	s_and_saveexec_b64 s[12:13], s[10:11]
	s_cbranch_execz .LBB0_10
; %bb.9:
	s_waitcnt lgkmcnt(0)
	v_add_f32_e32 v10, v9, v10
	v_cmp_lt_u32_e64 s[4:5], 31, v3
	v_cndmask_b32_e64 v3, v9, v10, s[4:5]
	v_cndmask_b32_e64 v3, v8, v3, s[8:9]
	;; [unrolled: 1-line block ×5, first 2 shown]
.LBB0_10:
	s_or_b64 exec, exec, s[12:13]
	ds_write_b32 v1, v11
.LBB0_11:
	s_or_b64 exec, exec, s[18:19]
	v_cmp_lt_u32_e64 s[0:1], 63, v0
	s_waitcnt lgkmcnt(0)
	s_barrier
	s_and_saveexec_b64 s[2:3], s[0:1]
	s_cbranch_execz .LBB0_13
; %bb.12:
	v_lshl_add_u32 v0, v7, 2, -4
	ds_read_b32 v0, v0
	s_waitcnt lgkmcnt(0)
	v_add_f32_e32 v2, v2, v0
.LBB0_13:
	s_or_b64 exec, exec, s[2:3]
	s_and_saveexec_b64 s[0:1], vcc
	s_cbranch_execz .LBB0_15
; %bb.14:
	s_lshl_b64 s[0:1], s[16:17], 2
	s_add_u32 s0, s14, s0
	s_addc_u32 s1, s15, s1
	v_add_f32_e32 v0, 0, v2
	global_store_dword v1, v0, s[0:1]
.LBB0_15:
	s_endpgm
	.section	.rodata,"a",@progbits
	.p2align	6, 0x0
	.amdhsa_kernel prefix_scan_sum_f32
		.amdhsa_group_segment_fixed_size 16
		.amdhsa_private_segment_fixed_size 0
		.amdhsa_kernarg_size 16
		.amdhsa_user_sgpr_count 6
		.amdhsa_user_sgpr_private_segment_buffer 1
		.amdhsa_user_sgpr_dispatch_ptr 0
		.amdhsa_user_sgpr_queue_ptr 0
		.amdhsa_user_sgpr_kernarg_segment_ptr 1
		.amdhsa_user_sgpr_dispatch_id 0
		.amdhsa_user_sgpr_flat_scratch_init 0
		.amdhsa_user_sgpr_private_segment_size 0
		.amdhsa_uses_dynamic_stack 0
		.amdhsa_system_sgpr_private_segment_wavefront_offset 0
		.amdhsa_system_sgpr_workgroup_id_x 1
		.amdhsa_system_sgpr_workgroup_id_y 0
		.amdhsa_system_sgpr_workgroup_id_z 0
		.amdhsa_system_sgpr_workgroup_info 0
		.amdhsa_system_vgpr_workitem_id 0
		.amdhsa_next_free_vgpr 18
		.amdhsa_next_free_sgpr 20
		.amdhsa_reserve_vcc 1
		.amdhsa_reserve_flat_scratch 0
		.amdhsa_float_round_mode_32 0
		.amdhsa_float_round_mode_16_64 0
		.amdhsa_float_denorm_mode_32 3
		.amdhsa_float_denorm_mode_16_64 3
		.amdhsa_dx10_clamp 1
		.amdhsa_ieee_mode 1
		.amdhsa_fp16_overflow 0
		.amdhsa_exception_fp_ieee_invalid_op 0
		.amdhsa_exception_fp_denorm_src 0
		.amdhsa_exception_fp_ieee_div_zero 0
		.amdhsa_exception_fp_ieee_overflow 0
		.amdhsa_exception_fp_ieee_underflow 0
		.amdhsa_exception_fp_ieee_inexact 0
		.amdhsa_exception_int_div_zero 0
	.end_amdhsa_kernel
	.text
.Lfunc_end0:
	.size	prefix_scan_sum_f32, .Lfunc_end0-prefix_scan_sum_f32
                                        ; -- End function
	.section	.AMDGPU.csdata,"",@progbits
; Kernel info:
; codeLenInByte = 860
; NumSgprs: 24
; NumVgprs: 18
; ScratchSize: 0
; MemoryBound: 0
; FloatMode: 240
; IeeeMode: 1
; LDSByteSize: 16 bytes/workgroup (compile time only)
; SGPRBlocks: 2
; VGPRBlocks: 4
; NumSGPRsForWavesPerEU: 24
; NumVGPRsForWavesPerEU: 18
; Occupancy: 8
; WaveLimiterHint : 0
; COMPUTE_PGM_RSRC2:SCRATCH_EN: 0
; COMPUTE_PGM_RSRC2:USER_SGPR: 6
; COMPUTE_PGM_RSRC2:TRAP_HANDLER: 0
; COMPUTE_PGM_RSRC2:TGID_X_EN: 1
; COMPUTE_PGM_RSRC2:TGID_Y_EN: 0
; COMPUTE_PGM_RSRC2:TGID_Z_EN: 0
; COMPUTE_PGM_RSRC2:TIDIG_COMP_CNT: 0
	.type	__hip_cuid_555e3c33693cd457,@object ; @__hip_cuid_555e3c33693cd457
	.section	.bss,"aw",@nobits
	.globl	__hip_cuid_555e3c33693cd457
__hip_cuid_555e3c33693cd457:
	.byte	0                               ; 0x0
	.size	__hip_cuid_555e3c33693cd457, 1

	.ident	"AMD clang version 19.0.0git (https://github.com/RadeonOpenCompute/llvm-project roc-6.4.0 25133 c7fe45cf4b819c5991fe208aaa96edf142730f1d)"
	.section	".note.GNU-stack","",@progbits
	.addrsig
	.addrsig_sym __hip_cuid_555e3c33693cd457
	.amdgpu_metadata
---
amdhsa.kernels:
  - .args:
      - .address_space:  global
        .offset:         0
        .size:           8
        .value_kind:     global_buffer
      - .address_space:  global
        .offset:         8
        .size:           8
        .value_kind:     global_buffer
    .group_segment_fixed_size: 16
    .kernarg_segment_align: 8
    .kernarg_segment_size: 16
    .language:       OpenCL C
    .language_version:
      - 2
      - 0
    .max_flat_workgroup_size: 1024
    .name:           prefix_scan_sum_f32
    .private_segment_fixed_size: 0
    .sgpr_count:     24
    .sgpr_spill_count: 0
    .symbol:         prefix_scan_sum_f32.kd
    .uniform_work_group_size: 1
    .uses_dynamic_stack: false
    .vgpr_count:     18
    .vgpr_spill_count: 0
    .wavefront_size: 64
amdhsa.target:   amdgcn-amd-amdhsa--gfx906
amdhsa.version:
  - 1
  - 2
...

	.end_amdgpu_metadata
